;; amdgpu-corpus repo=triton-lang/triton kind=triton arch=gfx1201 opt=O3 lang=triton
	.amdgcn_target "amdgcn-amd-amdhsa--gfx1201"
	.amdhsa_code_object_version 5
	.text
	.globl	indirect_matmul_kernel          ; -- Begin function indirect_matmul_kernel
	.p2align	8
	.type	indirect_matmul_kernel,@function
indirect_matmul_kernel:                 ; @indirect_matmul_kernel
.Lfunc_begin0:
	.file	1 "/root/src/amdgpu-assembly/repos/triton-lang__triton-aot" "indirect_matmul.py"
	.loc	1 8 0                           ; indirect_matmul.py:8:0
	.cfi_sections .debug_frame
	.cfi_startproc
; %bb.0:
	s_clause 0x1
	s_load_b32 s33, s[0:1], 0x38
	s_load_b64 s[2:3], s[0:1], 0x0
.Ltmp0:
	.loc	1 42 28 prologue_end            ; indirect_matmul.py:42:28
	s_bfe_u32 s6, ttmp8, 0x50019
	s_delay_alu instid0(SALU_CYCLE_1) | instskip(NEXT) | instid1(SALU_CYCLE_1)
	.loc	1 23 40                         ; indirect_matmul.py:23:40
	s_lshl_b32 s5, s6, 5
	v_and_or_b32 v81, v0, 31, s5
	s_and_b32 s4, s5, 0xc0
	.loc	1 32 25                         ; indirect_matmul.py:32:25
	s_wait_kmcnt 0x0
	s_cmp_lt_i32 s33, 1
	s_cbranch_scc1 .LBB0_4
; %bb.1:                                ; %.lr.ph
	.loc	1 0 25 is_stmt 0                ; indirect_matmul.py:0:25
	s_clause 0x1
	s_load_b96 s[8:10], s[0:1], 0x10
	s_load_b96 s[12:14], s[0:1], 0x20
                                        ; implicit-def: $vgpr166 : SGPR spill to VGPR lane
	.loc	1 28 17 is_stmt 1               ; indirect_matmul.py:28:17
	v_dual_mov_b32 v1, 0 :: v_dual_and_b32 v2, 0x7f, v81
	.loc	1 26 35                         ; indirect_matmul.py:26:35
	v_and_b32_e32 v3, 63, v81
	v_writelane_b32 v166, s0, 0
	s_load_b64 s[16:17], s[0:1], 0x30
	v_lshlrev_b32_e32 v5, 4, v0
	.loc	1 29 17                         ; indirect_matmul.py:29:17
	v_lshlrev_b32_e32 v2, 1, v2
	.loc	1 28 17                         ; indirect_matmul.py:28:17
	v_lshlrev_b32_e32 v3, 1, v3
	v_writelane_b32 v166, s1, 1
	v_dual_mov_b32 v29, v1 :: v_dual_lshlrev_b32 v8, 1, v81
	v_dual_mov_b32 v27, v1 :: v_dual_lshlrev_b32 v6, 1, v0
	v_lshlrev_b32_e32 v4, 6, v81
	s_delay_alu instid0(VALU_DEP_3) | instskip(NEXT) | instid1(VALU_DEP_3)
	v_dual_mov_b32 v17, v1 :: v_dual_and_b32 v8, 0x1fe, v8
	v_dual_mov_b32 v31, v1 :: v_dual_and_b32 v6, 30, v6
	s_wait_kmcnt 0x0
	v_add_co_u32 v82, s1, s8, v3
	s_mov_b32 s2, s10
	v_writelane_b32 v166, s0, 2
	s_wait_alu depctr_va_sdst(0)
	v_add_co_ci_u32_e64 v83, null, s9, 0, s1
	v_lshlrev_b32_e32 v3, 4, v81
	v_dual_mov_b32 v22, v1 :: v_dual_add_nc_u32 v89, 0, v8
	v_writelane_b32 v166, s1, 3
	v_mov_b32_e32 v8, v1
	s_delay_alu instid0(VALU_DEP_4)
	v_dual_mov_b32 v26, v1 :: v_dual_and_b32 v3, 0xd70, v3
	v_mov_b32_e32 v28, v1
	v_writelane_b32 v166, s2, 4
	.loc	1 29 17                         ; indirect_matmul.py:29:17
	v_add_co_u32 v84, s1, s12, v2
	s_mov_b32 s2, s14
	v_dual_mov_b32 v25, v1 :: v_dual_and_b32 v2, 0x70, v5
	v_lshlrev_b32_e32 v5, 6, v0
	v_writelane_b32 v166, s0, 5
	v_mov_b32_e32 v30, v1
	v_mov_b32_e32 v18, v1
	.loc	1 23 40                         ; indirect_matmul.py:23:40
	s_and_b32 s18, s6, 4
	v_and_b32_e32 v7, 0x200, v5
	.loc	1 29 17                         ; indirect_matmul.py:29:17
	s_wait_alu depctr_va_sdst(0)
	v_writelane_b32 v166, s1, 6
	v_dual_mov_b32 v32, v1 :: v_dual_and_b32 v5, 0x400, v5
	.loc	1 23 27                         ; indirect_matmul.py:23:27
	s_mov_b32 s19, 0
	v_add_nc_u32_e32 v7, 0, v7
	.loc	1 29 17                         ; indirect_matmul.py:29:17
	s_wait_alu depctr_sa_sdst(0)
	v_writelane_b32 v166, s2, 7
	s_and_b32 s0, s5, 32
	v_add_co_ci_u32_e64 v85, null, s13, 0, s1
	s_wait_alu depctr_sa_sdst(0)
	s_add_co_i32 s0, s0, 0
	v_dual_mov_b32 v19, v1 :: v_dual_add_nc_u32 v88, v7, v3
	v_dual_mov_b32 v3, v1 :: v_dual_and_b32 v4, 0x1e00, v4
	v_mov_b32_e32 v7, v1
	v_writelane_b32 v166, s4, 8
	s_wait_alu depctr_sa_sdst(0)
	v_add3_u32 v86, s0, v5, v6
	.loc	1 32 25                         ; indirect_matmul.py:32:25
	s_lshr_b32 s0, s4, 4
	s_lshl_b32 s1, s18, 5
	s_wait_alu depctr_sa_sdst(0)
	s_and_b32 s0, s0, 12
	v_add3_u32 v4, 0, s1, v4
	s_mov_b32 s1, s19
	s_wait_alu depctr_sa_sdst(0)
	v_writelane_b32 v166, s0, 9
	v_dual_mov_b32 v5, v1 :: v_dual_mov_b32 v6, v1
	v_dual_mov_b32 v20, v1 :: v_dual_add_nc_u32 v87, v4, v2
	v_writelane_b32 v166, s1, 10
	v_mov_b32_e32 v2, v1
	v_dual_mov_b32 v4, v1 :: v_dual_mov_b32 v21, v1
	v_dual_mov_b32 v24, v1 :: v_dual_mov_b32 v23, v1
	;; [unrolled: 1-line block ×6, first 2 shown]
	v_writelane_b32 v166, s18, 11
	s_mov_b32 s0, s19
	v_writelane_b32 v166, s19, 12
.LBB0_2:                                ; =>This Inner Loop Header: Depth=1
	.loc	1 33 22                         ; indirect_matmul.py:33:22
	s_wait_alu depctr_sa_sdst(0)
	v_writelane_b32 v166, s0, 13
	v_writelane_b32 v166, s16, 14
	;; [unrolled: 1-line block ×3, first 2 shown]
	s_delay_alu instid0(VALU_DEP_1)
	v_readlane_b32 s0, v166, 9
	v_readlane_b32 s1, v166, 10
	v_readlane_b32 s2, v166, 11
	v_readlane_b32 s4, v166, 2
	v_readlane_b32 s3, v166, 12
	v_readlane_b32 s6, v166, 4
	s_add_nc_u64 s[8:9], s[16:17], s[0:1]
	v_readlane_b32 s0, v166, 14
	v_readlane_b32 s1, v166, 15
	;; [unrolled: 1-line block ×3, first 2 shown]
	s_add_nc_u64 s[16:17], s[0:1], s[2:3]
	s_clause 0x1f
	s_load_b32 s72, s[8:9], 0x0
	s_load_b32 s71, s[8:9], 0x10
	;; [unrolled: 1-line block ×32, first 2 shown]
	s_clause 0x1f
	s_load_b32 s51, s[16:17], 0x18
	s_load_b32 s50, s[16:17], 0x20
	;; [unrolled: 1-line block ×32, first 2 shown]
	s_clause 0xf
	s_load_b32 s91, s[16:17], 0x118
	s_load_b32 s87, s[16:17], 0x120
	;; [unrolled: 1-line block ×16, first 2 shown]
	.loc	1 35 44                         ; indirect_matmul.py:35:44
	s_wait_kmcnt 0x0
	s_mul_i32 s0, s72, s6
	s_mul_i32 s4, s62, s6
	.loc	1 35 29 is_stmt 0               ; indirect_matmul.py:35:29
	s_wait_alu depctr_sa_sdst(0)
	s_ashr_i32 s1, s0, 31
	s_ashr_i32 s5, s4, 31
	s_wait_alu depctr_sa_sdst(0)
	s_lshl_b64 s[0:1], s[0:1], 1
	.loc	1 35 44                         ; indirect_matmul.py:35:44
	s_mul_i32 s14, s61, s6
	.loc	1 35 29                         ; indirect_matmul.py:35:29
	s_wait_alu depctr_sa_sdst(0)
	v_add_co_u32 v33, vcc_lo, v82, s0
	.loc	1 35 44                         ; indirect_matmul.py:35:44
	s_mul_i32 s0, s71, s6
	.loc	1 35 29                         ; indirect_matmul.py:35:29
	s_wait_alu depctr_va_vcc(0)
	v_add_co_ci_u32_e64 v34, null, s1, v83, vcc_lo
	s_wait_alu depctr_sa_sdst(0)
	s_ashr_i32 s1, s0, 31
	s_lshl_b64 s[4:5], s[4:5], 1
	s_wait_alu depctr_sa_sdst(0)
	s_lshl_b64 s[0:1], s[0:1], 1
	s_ashr_i32 s15, s14, 31
	s_wait_alu depctr_sa_sdst(0)
	v_add_co_u32 v35, vcc_lo, v82, s0
	.loc	1 35 44                         ; indirect_matmul.py:35:44
	s_mul_i32 s0, s70, s6
	.loc	1 35 29                         ; indirect_matmul.py:35:29
	s_wait_alu depctr_va_vcc(0)
	v_add_co_ci_u32_e64 v36, null, s1, v83, vcc_lo
	s_wait_alu depctr_sa_sdst(0)
	s_ashr_i32 s1, s0, 31
	s_lshl_b64 s[14:15], s[14:15], 1
	s_wait_alu depctr_sa_sdst(0)
	s_lshl_b64 s[0:1], s[0:1], 1
	.loc	1 33 22 is_stmt 1               ; indirect_matmul.py:33:22
	s_clause 0x5
	s_load_b32 s72, s[16:17], 0x198
	s_load_b32 s71, s[16:17], 0x1a0
	s_load_b32 vcc_hi, s[16:17], 0x1a8
	s_load_b32 s7, s[16:17], 0x1b8
	s_load_b32 s2, s[16:17], 0x1c8
	;; [unrolled: 1-line block ×3, first 2 shown]
	.loc	1 35 29                         ; indirect_matmul.py:35:29
	v_add_co_u32 v37, vcc_lo, v82, s0
	.loc	1 35 44 is_stmt 0               ; indirect_matmul.py:35:44
	s_mul_i32 s0, s69, s6
	.loc	1 35 29                         ; indirect_matmul.py:35:29
	s_wait_alu depctr_va_vcc(0)
	v_add_co_ci_u32_e64 v38, null, s1, v83, vcc_lo
	s_wait_alu depctr_sa_sdst(0)
	s_ashr_i32 s1, s0, 31
	.loc	1 33 22 is_stmt 1               ; indirect_matmul.py:33:22
	s_load_b32 s69, s[16:17], 0x1b0
	.loc	1 35 29                         ; indirect_matmul.py:35:29
	s_lshl_b64 s[0:1], s[0:1], 1
	.loc	1 33 22                         ; indirect_matmul.py:33:22
	s_load_b32 s11, s[16:17], 0x1d8
	.loc	1 35 29                         ; indirect_matmul.py:35:29
	v_add_co_u32 v39, vcc_lo, v82, s0
	.loc	1 35 44 is_stmt 0               ; indirect_matmul.py:35:44
	s_mul_i32 s0, s68, s6
	.loc	1 35 29                         ; indirect_matmul.py:35:29
	s_wait_alu depctr_va_vcc(0)
	v_add_co_ci_u32_e64 v40, null, s1, v83, vcc_lo
	s_wait_alu depctr_sa_sdst(0)
	s_ashr_i32 s1, s0, 31
	.loc	1 35 44                         ; indirect_matmul.py:35:44
	s_mul_i32 s54, s54, s6
	.loc	1 35 29                         ; indirect_matmul.py:35:29
	s_wait_alu depctr_sa_sdst(0)
	s_lshl_b64 s[0:1], s[0:1], 1
	.loc	1 35 44                         ; indirect_matmul.py:35:44
	s_mul_i32 s24, s24, s6
	.loc	1 35 29                         ; indirect_matmul.py:35:29
	s_wait_alu depctr_sa_sdst(0)
	v_add_co_u32 v41, vcc_lo, v82, s0
	.loc	1 35 44                         ; indirect_matmul.py:35:44
	s_mul_i32 s0, s67, s6
	.loc	1 35 29                         ; indirect_matmul.py:35:29
	s_wait_alu depctr_va_vcc(0)
	v_add_co_ci_u32_e64 v42, null, s1, v83, vcc_lo
	s_wait_alu depctr_sa_sdst(0)
	s_ashr_i32 s1, s0, 31
	.loc	1 33 22 is_stmt 1               ; indirect_matmul.py:33:22
	s_load_b32 s67, s[16:17], 0x1c0
	.loc	1 35 29                         ; indirect_matmul.py:35:29
	s_lshl_b64 s[0:1], s[0:1], 1
	.loc	1 35 44 is_stmt 0               ; indirect_matmul.py:35:44
	s_mul_i32 s28, s28, s6
	.loc	1 35 29                         ; indirect_matmul.py:35:29
	s_wait_alu depctr_sa_sdst(0)
	v_add_co_u32 v43, vcc_lo, v82, s0
	.loc	1 35 44                         ; indirect_matmul.py:35:44
	s_mul_i32 s0, s66, s6
	.loc	1 35 29                         ; indirect_matmul.py:35:29
	s_wait_alu depctr_va_vcc(0)
	v_add_co_ci_u32_e64 v44, null, s1, v83, vcc_lo
	s_wait_alu depctr_sa_sdst(0)
	s_ashr_i32 s1, s0, 31
	.loc	1 35 44                         ; indirect_matmul.py:35:44
	s_mul_i32 s34, s34, s6
	.loc	1 35 29                         ; indirect_matmul.py:35:29
	s_wait_alu depctr_sa_sdst(0)
	s_lshl_b64 s[0:1], s[0:1], 1
	.loc	1 35 44                         ; indirect_matmul.py:35:44
	s_mul_i32 s38, s38, s6
	.loc	1 35 29                         ; indirect_matmul.py:35:29
	s_wait_alu depctr_sa_sdst(0)
	v_add_co_u32 v45, vcc_lo, v82, s0
	.loc	1 35 44                         ; indirect_matmul.py:35:44
	s_mul_i32 s0, s65, s6
	.loc	1 35 29                         ; indirect_matmul.py:35:29
	s_wait_alu depctr_va_vcc(0)
	v_add_co_ci_u32_e64 v46, null, s1, v83, vcc_lo
	s_wait_alu depctr_sa_sdst(0)
	s_ashr_i32 s1, s0, 31
	.loc	1 35 44                         ; indirect_matmul.py:35:44
	s_mul_i32 s42, s42, s6
	.loc	1 35 29                         ; indirect_matmul.py:35:29
	s_wait_alu depctr_sa_sdst(0)
	s_lshl_b64 s[0:1], s[0:1], 1
	s_wait_alu depctr_sa_sdst(0)
	v_add_co_u32 v47, vcc_lo, v82, s0
	.loc	1 35 44                         ; indirect_matmul.py:35:44
	s_mul_i32 s0, s64, s6
	.loc	1 35 29                         ; indirect_matmul.py:35:29
	s_wait_alu depctr_va_vcc(0)
	v_add_co_ci_u32_e64 v48, null, s1, v83, vcc_lo
	s_wait_alu depctr_sa_sdst(0)
	s_ashr_i32 s1, s0, 31
	v_readlane_b32 s64, v166, 5
	s_wait_alu depctr_sa_sdst(0)
	s_lshl_b64 s[0:1], s[0:1], 1
	v_readlane_b32 s66, v166, 7
	s_wait_alu depctr_sa_sdst(0)
	v_add_co_u32 v49, vcc_lo, v82, s0
	.loc	1 35 44                         ; indirect_matmul.py:35:44
	s_mul_i32 s0, s63, s6
	.loc	1 35 29                         ; indirect_matmul.py:35:29
	s_wait_alu depctr_va_vcc(0)
	v_add_co_ci_u32_e64 v50, null, s1, v83, vcc_lo
	s_wait_alu depctr_sa_sdst(0)
	s_ashr_i32 s1, s0, 31
	.loc	1 36 44 is_stmt 1               ; indirect_matmul.py:36:44
	s_mul_i32 s52, s52, s66
	.loc	1 35 29                         ; indirect_matmul.py:35:29
	s_wait_alu depctr_sa_sdst(0)
	s_lshl_b64 s[0:1], s[0:1], 1
	.loc	1 36 44                         ; indirect_matmul.py:36:44
	s_mul_i32 s50, s50, s66
	.loc	1 35 29                         ; indirect_matmul.py:35:29
	s_wait_alu depctr_sa_sdst(0)
	v_add_co_u32 v51, vcc_lo, v82, s0
	s_wait_alu depctr_va_vcc(0)
	v_add_co_ci_u32_e64 v52, null, s1, v83, vcc_lo
	v_add_co_u32 v53, vcc_lo, v82, s4
	s_wait_alu depctr_va_vcc(0)
	v_add_co_ci_u32_e64 v54, null, s5, v83, vcc_lo
	v_add_co_u32 v55, vcc_lo, v82, s14
	.loc	1 33 22                         ; indirect_matmul.py:33:22
	s_clause 0x2
	s_load_b32 s5, s[8:9], 0x1d0
	s_load_b32 s61, s[8:9], 0x1e0
	;; [unrolled: 1-line block ×3, first 2 shown]
	.loc	1 35 44                         ; indirect_matmul.py:35:44
	s_mul_i32 s8, s60, s6
	.loc	1 35 29 is_stmt 0               ; indirect_matmul.py:35:29
	v_add_co_ci_u32_e64 v56, null, s15, v83, vcc_lo
	s_wait_alu depctr_sa_sdst(0)
	s_ashr_i32 s9, s8, 31
	.loc	1 33 22 is_stmt 1               ; indirect_matmul.py:33:22
	s_load_b32 s1, s[16:17], 0x1e0
	.loc	1 35 29                         ; indirect_matmul.py:35:29
	s_lshl_b64 s[8:9], s[8:9], 1
	.loc	1 33 22                         ; indirect_matmul.py:33:22
	s_clause 0x2
	s_load_b32 s63, s[16:17], 0x1e8
	s_load_b32 s0, s[16:17], 0x1f0
	s_load_b32 s4, s[16:17], 0x1f8
	.loc	1 35 29                         ; indirect_matmul.py:35:29
	v_add_co_u32 v57, vcc_lo, v82, s8
	.loc	1 35 44 is_stmt 0               ; indirect_matmul.py:35:44
	s_mul_i32 s8, s57, s6
	.loc	1 35 29                         ; indirect_matmul.py:35:29
	s_wait_alu depctr_va_vcc(0)
	v_add_co_ci_u32_e64 v58, null, s9, v83, vcc_lo
	.loc	1 35 44                         ; indirect_matmul.py:35:44
	s_mul_i32 s16, s58, s6
	.loc	1 35 29                         ; indirect_matmul.py:35:29
	s_wait_alu depctr_sa_sdst(0)
	s_ashr_i32 s9, s8, 31
	s_ashr_i32 s17, s16, 31
	s_wait_alu depctr_sa_sdst(0)
	s_lshl_b64 s[8:9], s[8:9], 1
	s_lshl_b64 s[16:17], s[16:17], 1
	s_wait_alu depctr_sa_sdst(0)
	v_add_co_u32 v59, vcc_lo, v82, s8
	.loc	1 35 44                         ; indirect_matmul.py:35:44
	s_mul_i32 s8, s55, s6
	.loc	1 35 29                         ; indirect_matmul.py:35:29
	s_ashr_i32 s55, s54, 31
	s_wait_alu depctr_va_vcc(0)
	v_add_co_ci_u32_e64 v60, null, s9, v83, vcc_lo
	v_add_co_u32 v61, vcc_lo, v82, s16
	s_wait_alu depctr_sa_sdst(0)
	s_lshl_b64 s[54:55], s[54:55], 1
	s_wait_alu depctr_va_vcc(0)
	v_add_co_ci_u32_e64 v62, null, s17, v83, vcc_lo
	s_wait_alu depctr_sa_sdst(0)
	v_add_co_u32 v63, vcc_lo, v82, s54
	.loc	1 36 44 is_stmt 1               ; indirect_matmul.py:36:44
	s_mul_i32 s54, s59, s66
	.loc	1 35 29                         ; indirect_matmul.py:35:29
	s_wait_alu depctr_va_vcc(0)
	v_add_co_ci_u32_e64 v64, null, s55, v83, vcc_lo
	.loc	1 36 29                         ; indirect_matmul.py:36:29
	s_wait_alu depctr_sa_sdst(0)
	s_ashr_i32 s55, s54, 31
	.loc	1 35 44                         ; indirect_matmul.py:35:44
	s_mul_i32 s16, s20, s6
	.loc	1 36 29                         ; indirect_matmul.py:36:29
	s_wait_alu depctr_sa_sdst(0)
	s_lshl_b64 s[54:55], s[54:55], 1
	.loc	1 35 44                         ; indirect_matmul.py:35:44
	s_mul_i32 s20, s53, s6
	.loc	1 36 29                         ; indirect_matmul.py:36:29
	s_wait_alu depctr_sa_sdst(0)
	v_add_co_u32 v65, vcc_lo, v84, s54
	.loc	1 36 44 is_stmt 0               ; indirect_matmul.py:36:44
	s_mul_i32 s54, s56, s66
	.loc	1 36 29                         ; indirect_matmul.py:36:29
	s_wait_alu depctr_va_vcc(0)
	v_add_co_ci_u32_e64 v66, null, s55, v85, vcc_lo
	s_wait_alu depctr_sa_sdst(0)
	s_ashr_i32 s55, s54, 31
	s_ashr_i32 s53, s52, 31
	s_wait_alu depctr_sa_sdst(0)
	s_lshl_b64 s[54:55], s[54:55], 1
	s_lshl_b64 s[52:53], s[52:53], 1
	s_wait_alu depctr_sa_sdst(0)
	v_add_co_u32 v67, vcc_lo, v84, s54
	s_wait_alu depctr_va_vcc(0)
	v_add_co_ci_u32_e64 v68, null, s55, v85, vcc_lo
	v_add_co_u32 v69, vcc_lo, v84, s52
	.loc	1 36 44                         ; indirect_matmul.py:36:44
	s_mul_i32 s52, s51, s66
	.loc	1 36 29                         ; indirect_matmul.py:36:29
	s_wait_alu depctr_va_vcc(0)
	v_add_co_ci_u32_e64 v70, null, s53, v85, vcc_lo
	s_wait_alu depctr_sa_sdst(0)
	s_ashr_i32 s53, s52, 31
	s_ashr_i32 s51, s50, 31
	s_wait_alu depctr_sa_sdst(0)
	s_lshl_b64 s[52:53], s[52:53], 1
	s_lshl_b64 s[50:51], s[50:51], 1
	s_wait_alu depctr_sa_sdst(0)
	v_add_co_u32 v71, vcc_lo, v84, s52
	s_wait_alu depctr_va_vcc(0)
	v_add_co_ci_u32_e64 v72, null, s53, v85, vcc_lo
	v_add_co_u32 v73, vcc_lo, v84, s50
	.loc	1 36 44                         ; indirect_matmul.py:36:44
	s_mul_i32 s50, s46, s66
	.loc	1 36 29                         ; indirect_matmul.py:36:29
	s_wait_alu depctr_va_vcc(0)
	v_add_co_ci_u32_e64 v74, null, s51, v85, vcc_lo
	s_wait_alu depctr_sa_sdst(0)
	s_ashr_i32 s51, s50, 31
	.loc	1 36 44                         ; indirect_matmul.py:36:44
	s_mul_i32 s52, s49, s66
	.loc	1 36 29                         ; indirect_matmul.py:36:29
	s_wait_alu depctr_sa_sdst(0)
	s_lshl_b64 s[50:51], s[50:51], 1
	s_ashr_i32 s53, s52, 31
	.loc	1 36 44                         ; indirect_matmul.py:36:44
	s_mul_i32 s48, s48, s66
	.loc	1 36 29                         ; indirect_matmul.py:36:29
	s_wait_alu depctr_sa_sdst(0)
	v_add_co_u32 v75, vcc_lo, v84, s50
	s_lshl_b64 s[52:53], s[52:53], 1
	s_ashr_i32 s49, s48, 31
	s_wait_alu depctr_va_vcc(0)
	v_add_co_ci_u32_e64 v76, null, s51, v85, vcc_lo
	s_wait_alu depctr_sa_sdst(0)
	v_add_co_u32 v77, vcc_lo, v84, s52
	s_lshl_b64 s[48:49], s[48:49], 1
	s_wait_alu depctr_va_vcc(0)
	v_add_co_ci_u32_e64 v78, null, s53, v85, vcc_lo
	s_wait_alu depctr_sa_sdst(0)
	v_add_co_u32 v79, vcc_lo, v84, s48
	.loc	1 36 44                         ; indirect_matmul.py:36:44
	s_mul_i32 s48, s47, s66
	.loc	1 36 29                         ; indirect_matmul.py:36:29
	s_wait_alu depctr_va_vcc(0)
	v_add_co_ci_u32_e64 v80, null, s49, v85, vcc_lo
	s_wait_alu depctr_sa_sdst(0)
	s_ashr_i32 s49, s48, 31
	.loc	1 36 44                         ; indirect_matmul.py:36:44
	s_mul_i32 s44, s44, s66
	.loc	1 35 44 is_stmt 1               ; indirect_matmul.py:35:44
	s_mul_i32 s46, s45, s6
	s_mul_i32 s54, s40, s6
	.loc	1 36 29                         ; indirect_matmul.py:36:29
	s_wait_alu depctr_sa_sdst(0)
	s_lshl_b64 s[48:49], s[48:49], 1
	s_ashr_i32 s45, s44, 31
	.loc	1 36 44 is_stmt 0               ; indirect_matmul.py:36:44
	s_mul_i32 s40, s41, s66
	.loc	1 36 29                         ; indirect_matmul.py:36:29
	s_wait_alu depctr_sa_sdst(0)
	v_add_co_u32 v90, vcc_lo, v84, s48
	s_lshl_b64 s[44:45], s[44:45], 1
	s_ashr_i32 s41, s40, 31
	.loc	1 35 44 is_stmt 1               ; indirect_matmul.py:35:44
	s_mul_i32 s58, s37, s6
	.loc	1 36 29                         ; indirect_matmul.py:36:29
	s_wait_alu depctr_va_vcc(0)
	v_add_co_ci_u32_e64 v91, null, s49, v85, vcc_lo
	.loc	1 35 44                         ; indirect_matmul.py:35:44
	s_mul_i32 s64, s30, s6
	.loc	1 36 29                         ; indirect_matmul.py:36:29
	s_wait_alu depctr_sa_sdst(0)
	v_add_co_u32 v92, vcc_lo, v84, s44
	.loc	1 36 44 is_stmt 0               ; indirect_matmul.py:36:44
	s_mul_i32 s30, s36, s66
	.loc	1 36 29                         ; indirect_matmul.py:36:29
	s_lshl_b64 s[36:37], s[40:41], 1
	s_wait_alu depctr_va_vcc(0)
	v_add_co_ci_u32_e64 v93, null, s45, v85, vcc_lo
	s_wait_alu depctr_sa_sdst(0)
	v_add_co_u32 v94, vcc_lo, v84, s36
	.loc	1 36 44                         ; indirect_matmul.py:36:44
	s_mul_i32 s36, s39, s66
	.loc	1 36 29                         ; indirect_matmul.py:36:29
	s_wait_alu depctr_va_vcc(0)
	v_add_co_ci_u32_e64 v95, null, s37, v85, vcc_lo
	s_wait_alu depctr_sa_sdst(0)
	s_ashr_i32 s37, s36, 31
	.loc	1 36 44                         ; indirect_matmul.py:36:44
	s_mul_i32 s44, s35, s66
	.loc	1 36 29                         ; indirect_matmul.py:36:29
	s_wait_alu depctr_sa_sdst(0)
	s_lshl_b64 s[36:37], s[36:37], 1
	s_ashr_i32 s45, s44, 31
	s_wait_alu depctr_sa_sdst(0)
	v_add_co_u32 v96, vcc_lo, v84, s36
	.loc	1 36 44                         ; indirect_matmul.py:36:44
	s_mul_i32 s36, s31, s66
	.loc	1 36 29                         ; indirect_matmul.py:36:29
	s_wait_alu depctr_va_vcc(0)
	v_add_co_ci_u32_e64 v97, null, s37, v85, vcc_lo
	s_wait_alu depctr_sa_sdst(0)
	s_ashr_i32 s37, s36, 31
	.loc	1 36 44                         ; indirect_matmul.py:36:44
	s_mul_i32 s40, s29, s66
	.loc	1 36 29                         ; indirect_matmul.py:36:29
	s_wait_alu depctr_sa_sdst(0)
	s_lshl_b64 s[36:37], s[36:37], 1
	.loc	1 36 44                         ; indirect_matmul.py:36:44
	s_mul_i32 s12, s26, s66
	.loc	1 36 29                         ; indirect_matmul.py:36:29
	s_wait_alu depctr_sa_sdst(0)
	v_add_co_u32 v98, vcc_lo, v84, s36
	.loc	1 36 44                         ; indirect_matmul.py:36:44
	s_mul_i32 s74, s27, s66
	.loc	1 36 29                         ; indirect_matmul.py:36:29
	s_lshl_b64 s[26:27], s[44:45], 1
	s_wait_alu depctr_va_vcc(0)
	v_add_co_ci_u32_e64 v99, null, s37, v85, vcc_lo
	s_wait_alu depctr_sa_sdst(0)
	v_add_co_u32 v100, vcc_lo, v84, s26
	s_ashr_i32 s41, s40, 31
	s_wait_alu depctr_va_vcc(0)
	v_add_co_ci_u32_e64 v101, null, s27, v85, vcc_lo
	s_wait_alu depctr_sa_sdst(0)
	s_lshl_b64 s[26:27], s[40:41], 1
	s_ashr_i32 s31, s30, 31
	.loc	1 36 44                         ; indirect_matmul.py:36:44
	s_mul_i32 s82, s23, s66
	.loc	1 36 29                         ; indirect_matmul.py:36:29
	s_wait_alu depctr_sa_sdst(0)
	v_add_co_u32 v102, vcc_lo, v84, s26
	.loc	1 36 44                         ; indirect_matmul.py:36:44
	s_mul_i32 s80, s22, s66
	.loc	1 36 29                         ; indirect_matmul.py:36:29
	s_lshl_b64 s[22:23], s[30:31], 1
	.loc	1 35 29 is_stmt 1               ; indirect_matmul.py:35:29
	s_ashr_i32 s9, s8, 31
	.loc	1 36 29                         ; indirect_matmul.py:36:29
	s_wait_alu depctr_va_vcc(0)
	v_add_co_ci_u32_e64 v103, null, s27, v85, vcc_lo
	s_wait_alu depctr_sa_sdst(0)
	v_add_co_u32 v104, vcc_lo, v84, s22
	.loc	1 35 29                         ; indirect_matmul.py:35:29
	s_lshl_b64 s[8:9], s[8:9], 1
	s_ashr_i32 s17, s16, 31
	.loc	1 36 44                         ; indirect_matmul.py:36:44
	s_mul_i32 s90, s21, s66
	.loc	1 36 29 is_stmt 0               ; indirect_matmul.py:36:29
	s_wait_alu depctr_va_vcc(0)
	v_add_co_ci_u32_e64 v105, null, s23, v85, vcc_lo
	.loc	1 35 29 is_stmt 1               ; indirect_matmul.py:35:29
	s_wait_alu depctr_sa_sdst(0)
	v_add_co_u32 v106, vcc_lo, v82, s8
	s_lshl_b64 s[16:17], s[16:17], 1
	s_ashr_i32 s21, s20, 31
	.loc	1 36 44                         ; indirect_matmul.py:36:44
	s_mul_i32 s86, s25, s66
	.loc	1 35 29                         ; indirect_matmul.py:35:29
	s_wait_alu depctr_va_vcc(0)
	v_add_co_ci_u32_e64 v107, null, s9, v83, vcc_lo
	s_wait_alu depctr_sa_sdst(0)
	v_add_co_u32 v108, vcc_lo, v82, s16
	s_lshl_b64 s[20:21], s[20:21], 1
	s_ashr_i32 s25, s24, 31
	s_wait_alu depctr_va_vcc(0)
	v_add_co_ci_u32_e64 v109, null, s17, v83, vcc_lo
	s_wait_alu depctr_sa_sdst(0)
	v_add_co_u32 v110, vcc_lo, v82, s20
	s_lshl_b64 s[24:25], s[24:25], 1
	s_ashr_i32 s29, s28, 31
	;; [unrolled: 6-line block ×4, first 2 shown]
	.loc	1 35 44 is_stmt 0               ; indirect_matmul.py:35:44
	s_mul_i32 s50, s43, s6
	.loc	1 35 29                         ; indirect_matmul.py:35:29
	s_wait_alu depctr_va_vcc(0)
	v_add_co_ci_u32_e64 v115, null, s29, v83, vcc_lo
	s_wait_alu depctr_sa_sdst(0)
	v_add_co_u32 v116, vcc_lo, v82, s34
	s_lshl_b64 s[38:39], s[38:39], 1
	s_ashr_i32 s43, s42, 31
	s_wait_alu depctr_va_vcc(0)
	v_add_co_ci_u32_e64 v117, null, s35, v83, vcc_lo
	s_wait_alu depctr_sa_sdst(0)
	v_add_co_u32 v118, vcc_lo, v82, s38
	s_lshl_b64 s[42:43], s[42:43], 1
	s_ashr_i32 s47, s46, 31
	;; [unrolled: 6-line block ×5, first 2 shown]
	v_readlane_b32 s65, v166, 6
	s_wait_alu depctr_va_vcc(0)
	v_add_co_ci_u32_e64 v125, null, s51, v83, vcc_lo
	s_wait_alu depctr_sa_sdst(0)
	v_add_co_u32 v126, vcc_lo, v82, s54
	s_lshl_b64 s[58:59], s[58:59], 1
	s_ashr_i32 s65, s64, 31
	.loc	1 36 44 is_stmt 1               ; indirect_matmul.py:36:44
	s_mul_i32 s26, s13, s66
	.loc	1 35 29                         ; indirect_matmul.py:35:29
	s_wait_alu depctr_va_vcc(0)
	v_add_co_ci_u32_e64 v127, null, s55, v83, vcc_lo
	s_wait_alu depctr_sa_sdst(0)
	v_add_co_u32 v128, vcc_lo, v82, s58
	s_lshl_b64 s[64:65], s[64:65], 1
	.loc	1 36 29                         ; indirect_matmul.py:36:29
	s_ashr_i32 s13, s12, 31
	.loc	1 35 29                         ; indirect_matmul.py:35:29
	s_wait_alu depctr_va_vcc(0)
	v_add_co_ci_u32_e64 v129, null, s59, v83, vcc_lo
	s_wait_alu depctr_sa_sdst(0)
	v_add_co_u32 v130, vcc_lo, v82, s64
	.loc	1 36 29                         ; indirect_matmul.py:36:29
	s_lshl_b64 s[12:13], s[12:13], 1
	.loc	1 36 44 is_stmt 0               ; indirect_matmul.py:36:44
	s_mul_i32 s20, s75, s66
	.loc	1 35 29 is_stmt 1               ; indirect_matmul.py:35:29
	s_wait_alu depctr_va_vcc(0)
	v_add_co_ci_u32_e64 v131, null, s65, v83, vcc_lo
	.loc	1 36 29                         ; indirect_matmul.py:36:29
	s_wait_alu depctr_sa_sdst(0)
	v_add_co_u32 v132, vcc_lo, v84, s12
	s_ashr_i32 s75, s74, 31
	s_wait_alu depctr_va_vcc(0)
	v_add_co_ci_u32_e64 v133, null, s13, v85, vcc_lo
	s_wait_alu depctr_sa_sdst(0)
	s_lshl_b64 s[12:13], s[74:75], 1
	.loc	1 36 44 is_stmt 0               ; indirect_matmul.py:36:44
	s_mul_i32 s8, s83, s66
	.loc	1 36 29                         ; indirect_matmul.py:36:29
	s_wait_alu depctr_sa_sdst(0)
	v_add_co_u32 v134, vcc_lo, v84, s12
	s_ashr_i32 s83, s82, 31
	s_wait_alu depctr_va_vcc(0)
	v_add_co_ci_u32_e64 v135, null, s13, v85, vcc_lo
	s_lshl_b64 s[12:13], s[82:83], 1
	.loc	1 36 44                         ; indirect_matmul.py:36:44
	s_mul_i32 s38, s87, s66
	.loc	1 36 29                         ; indirect_matmul.py:36:29
	s_wait_alu depctr_sa_sdst(0)
	v_add_co_u32 v136, vcc_lo, v84, s12
	s_ashr_i32 s87, s86, 31
	s_wait_alu depctr_va_vcc(0)
	v_add_co_ci_u32_e64 v137, null, s13, v85, vcc_lo
	s_lshl_b64 s[12:13], s[86:87], 1
	.loc	1 36 44                         ; indirect_matmul.py:36:44
	s_mul_i32 s36, s91, s66
	.loc	1 36 29                         ; indirect_matmul.py:36:29
	s_wait_alu depctr_sa_sdst(0)
	v_add_co_u32 v138, vcc_lo, v84, s12
	s_ashr_i32 s91, s90, 31
	s_mov_b32 s10, s66
	.loc	1 36 44                         ; indirect_matmul.py:36:44
	s_mul_i32 s78, s18, s66
	s_mul_i32 s62, s81, s66
	.loc	1 36 29                         ; indirect_matmul.py:36:29
	s_wait_alu depctr_va_vcc(0)
	v_add_co_ci_u32_e64 v139, null, s13, v85, vcc_lo
	s_lshl_b64 s[12:13], s[90:91], 1
	s_ashr_i32 s81, s80, 31
	.loc	1 36 44                         ; indirect_matmul.py:36:44
	s_mul_i32 s68, s19, s66
	s_mul_i32 s18, s79, s66
	;; [unrolled: 1-line block ×3, first 2 shown]
	s_wait_kmcnt 0x0
	s_wait_alu depctr_sa_sdst(0)
	s_mul_i32 s88, s2, s10
	.loc	1 36 29                         ; indirect_matmul.py:36:29
	v_add_co_u32 v140, vcc_lo, v84, s12
	.loc	1 36 44                         ; indirect_matmul.py:36:44
	s_mul_i32 s90, s3, s10
	.loc	1 36 29                         ; indirect_matmul.py:36:29
	s_lshl_b64 s[2:3], s[80:81], 1
	s_ashr_i32 s79, s78, 31
	.loc	1 36 44                         ; indirect_matmul.py:36:44
	s_mul_i32 s82, s69, s10
	.loc	1 36 29                         ; indirect_matmul.py:36:29
	s_wait_alu depctr_va_vcc(0)
	v_add_co_ci_u32_e64 v141, null, s13, v85, vcc_lo
	s_wait_alu depctr_sa_sdst(0)
	v_add_co_u32 v142, vcc_lo, v84, s2
	s_lshl_b64 s[78:79], s[78:79], 1
	s_ashr_i32 s69, s68, 31
	s_wait_alu depctr_va_vcc(0)
	v_add_co_ci_u32_e64 v143, null, s3, v85, vcc_lo
	.loc	1 36 44                         ; indirect_matmul.py:36:44
	s_mul_i32 s12, s63, s10
	.loc	1 36 29                         ; indirect_matmul.py:36:29
	s_wait_alu depctr_sa_sdst(0)
	v_add_co_u32 v144, vcc_lo, v84, s78
	s_lshl_b64 s[68:69], s[68:69], 1
	s_ashr_i32 s63, s62, 31
	.loc	1 36 44                         ; indirect_matmul.py:36:44
	s_mul_i32 s16, s77, s66
	.loc	1 36 29                         ; indirect_matmul.py:36:29
	s_wait_alu depctr_va_vcc(0)
	v_add_co_ci_u32_e64 v145, null, s79, v85, vcc_lo
	s_wait_alu depctr_sa_sdst(0)
	v_add_co_u32 v146, vcc_lo, v84, s68
	s_lshl_b64 s[62:63], s[62:63], 1
	s_ashr_i32 s9, s8, 31
	s_wait_alu depctr_va_vcc(0)
	v_add_co_ci_u32_e64 v147, null, s69, v85, vcc_lo
	s_wait_alu depctr_sa_sdst(0)
	v_add_co_u32 v148, vcc_lo, v84, s62
	s_ashr_i32 s17, s16, 31
	s_lshl_b64 s[80:81], s[8:9], 1
	.loc	1 36 44                         ; indirect_matmul.py:36:44
	s_mul_i32 s46, s94, s66
	s_mul_i32 s48, s95, s66
	.loc	1 36 29                         ; indirect_matmul.py:36:29
	s_wait_alu depctr_va_vcc(0)
	v_add_co_ci_u32_e64 v149, null, s63, v85, vcc_lo
	s_ashr_i32 s19, s18, 31
	s_wait_alu depctr_sa_sdst(0)
	s_lshl_b64 s[94:95], s[16:17], 1
	.loc	1 36 20                         ; indirect_matmul.py:36:20
	s_clause 0x1
	global_load_u16 v158, v[69:70], off
	global_load_u16 v159, v[71:72], off
	.loc	1 36 29                         ; indirect_matmul.py:36:29
	v_add_co_u32 v69, vcc_lo, v84, s80
	.loc	1 36 44                         ; indirect_matmul.py:36:44
	s_mul_i32 s22, s76, s66
	s_mul_i32 s50, s96, s66
	;; [unrolled: 1-line block ×3, first 2 shown]
	.loc	1 36 29                         ; indirect_matmul.py:36:29
	s_ashr_i32 s21, s20, 31
	s_lshl_b64 s[96:97], s[18:19], 1
	s_wait_alu depctr_va_vcc(0)
	v_add_co_ci_u32_e64 v70, null, s81, v85, vcc_lo
	.loc	1 36 20                         ; indirect_matmul.py:36:20
	s_clause 0x1
	global_load_u16 v160, v[65:66], off
	global_load_u16 v161, v[75:76], off
	.loc	1 36 29                         ; indirect_matmul.py:36:29
	s_wait_alu depctr_sa_sdst(0)
	v_add_co_u32 v65, vcc_lo, v84, s94
	.loc	1 36 44                         ; indirect_matmul.py:36:44
	s_mul_i32 s24, s73, s66
	s_mul_i32 s54, s98, s66
	;; [unrolled: 1-line block ×3, first 2 shown]
	.loc	1 36 29                         ; indirect_matmul.py:36:29
	s_ashr_i32 s23, s22, 31
	s_lshl_b64 s[98:99], s[20:21], 1
	s_wait_alu depctr_va_vcc(0)
	v_add_co_ci_u32_e64 v66, null, s95, v85, vcc_lo
	.loc	1 36 20                         ; indirect_matmul.py:36:20
	s_clause 0x1
	global_load_u16 v162, v[102:103], off
	global_load_u16 v163, v[73:74], off
	.loc	1 36 29                         ; indirect_matmul.py:36:29
	v_add_co_u32 v73, vcc_lo, v84, s96
	.loc	1 36 44                         ; indirect_matmul.py:36:44
	s_mul_i32 s58, s100, s66
	s_mul_i32 s60, s101, s66
	.loc	1 36 29                         ; indirect_matmul.py:36:29
	s_wait_alu depctr_sa_sdst(0)
	s_ashr_i32 s25, s24, 31
	s_lshl_b64 s[100:101], s[22:23], 1
	s_wait_alu depctr_va_vcc(0)
	v_add_co_ci_u32_e64 v74, null, s97, v85, vcc_lo
	.loc	1 36 20                         ; indirect_matmul.py:36:20
	s_clause 0x1
	global_load_u16 v164, v[104:105], off
	global_load_u16 v165, v[67:68], off
	.loc	1 36 29                         ; indirect_matmul.py:36:29
	v_add_co_u32 v67, vcc_lo, v84, s98
	.loc	1 36 44                         ; indirect_matmul.py:36:44
	s_mul_i32 s28, s92, s66
	s_mul_i32 s30, s93, s66
	;; [unrolled: 1-line block ×7, first 2 shown]
	.loc	1 36 20                         ; indirect_matmul.py:36:20
	s_clause 0x1
	global_load_u16 v152, v[92:93], off
	global_load_u16 v153, v[94:95], off
	.loc	1 36 29                         ; indirect_matmul.py:36:29
	s_ashr_i32 s27, s26, 31
	s_wait_alu depctr_sa_sdst(0)
	s_lshl_b64 s[102:103], s[24:25], 1
	s_wait_alu depctr_va_vcc(0)
	v_add_co_ci_u32_e64 v68, null, s99, v85, vcc_lo
	.loc	1 35 20 is_stmt 1               ; indirect_matmul.py:35:20
	s_clause 0x1
	global_load_u16 v92, v[33:34], off
	global_load_u16 v93, v[35:36], off
	.loc	1 36 29                         ; indirect_matmul.py:36:29
	v_add_co_u32 v33, vcc_lo, v84, s100
	.loc	1 36 44 is_stmt 0               ; indirect_matmul.py:36:44
	s_mul_i32 s84, s7, s10
	.loc	1 35 44 is_stmt 1               ; indirect_matmul.py:35:44
	s_mul_i32 s68, s5, s6
	s_mul_i32 s78, s61, s6
	;; [unrolled: 1-line block ×3, first 2 shown]
	.loc	1 36 29                         ; indirect_matmul.py:36:29
	s_ashr_i32 s29, s28, 31
	s_lshl_b64 s[6:7], s[26:27], 1
	s_wait_alu depctr_va_vcc(0)
	v_add_co_ci_u32_e64 v34, null, s101, v85, vcc_lo
	s_wait_alu depctr_sa_sdst(0)
	v_add_co_u32 v35, vcc_lo, v84, s102
	.loc	1 36 44 is_stmt 0               ; indirect_matmul.py:36:44
	s_mul_i32 s70, s104, s10
	s_mul_i32 s72, s72, s10
	;; [unrolled: 1-line block ×3, first 2 shown]
	s_mul_i32 s76, vcc_hi, s10
	s_mul_i32 s86, s67, s10
	s_mul_i32 s92, s11, s10
	;; [unrolled: 1-line block ×5, first 2 shown]
	.loc	1 36 29                         ; indirect_matmul.py:36:29
	s_ashr_i32 s31, s30, 31
	s_lshl_b64 s[10:11], s[28:29], 1
	.loc	1 35 20 is_stmt 1               ; indirect_matmul.py:35:20
	s_clause 0x1
	global_load_u16 v94, v[37:38], off
	global_load_u16 v95, v[39:40], off
	.loc	1 36 29                         ; indirect_matmul.py:36:29
	v_add_co_ci_u32_e64 v36, null, s103, v85, vcc_lo
	v_add_co_u32 v37, vcc_lo, v84, s6
	s_ashr_i32 s35, s34, 31
	s_wait_alu depctr_sa_sdst(0)
	s_lshl_b64 s[8:9], s[30:31], 1
	s_wait_alu depctr_va_vcc(0)
	v_add_co_ci_u32_e64 v38, null, s7, v85, vcc_lo
	v_add_co_u32 v39, vcc_lo, v84, s10
	.loc	1 36 20 is_stmt 0               ; indirect_matmul.py:36:20
	s_clause 0x1
	global_load_u16 v150, v[77:78], off
	global_load_u16 v151, v[90:91], off
	.loc	1 36 29                         ; indirect_matmul.py:36:29
	s_ashr_i32 s37, s36, 31
	s_lshl_b64 s[16:17], s[34:35], 1
	.loc	1 35 20 is_stmt 1               ; indirect_matmul.py:35:20
	s_clause 0x1
	global_load_u16 v90, v[41:42], off
	global_load_u16 v91, v[43:44], off
	.loc	1 36 29                         ; indirect_matmul.py:36:29
	s_wait_alu depctr_va_vcc(0)
	v_add_co_ci_u32_e64 v40, null, s11, v85, vcc_lo
	s_wait_alu depctr_sa_sdst(0)
	v_add_co_u32 v41, vcc_lo, v84, s8
	s_ashr_i32 s39, s38, 31
	s_lshl_b64 s[18:19], s[36:37], 1
	s_wait_alu depctr_va_vcc(0)
	v_add_co_ci_u32_e64 v42, null, s9, v85, vcc_lo
	v_add_co_u32 v43, vcc_lo, v84, s16
	.loc	1 36 20 is_stmt 0               ; indirect_matmul.py:36:20
	s_clause 0x1
	global_load_u16 v156, v[96:97], off
	global_load_u16 v157, v[79:80], off
	.loc	1 36 29                         ; indirect_matmul.py:36:29
	s_ashr_i32 s41, s40, 31
	s_wait_alu depctr_sa_sdst(0)
	s_lshl_b64 s[20:21], s[38:39], 1
	.loc	1 35 20 is_stmt 1               ; indirect_matmul.py:35:20
	s_clause 0x1
	global_load_u16 v96, v[45:46], off
	global_load_u16 v97, v[47:48], off
	.loc	1 36 29                         ; indirect_matmul.py:36:29
	s_wait_alu depctr_va_vcc(0)
	v_add_co_ci_u32_e64 v44, null, s17, v85, vcc_lo
	v_add_co_u32 v45, vcc_lo, v84, s18
	s_ashr_i32 s43, s42, 31
	s_lshl_b64 s[22:23], s[40:41], 1
	s_wait_alu depctr_va_vcc(0)
	v_add_co_ci_u32_e64 v46, null, s19, v85, vcc_lo
	s_wait_alu depctr_sa_sdst(0)
	v_add_co_u32 v47, vcc_lo, v84, s20
	.loc	1 36 20 is_stmt 0               ; indirect_matmul.py:36:20
	s_clause 0x1
	global_load_u16 v154, v[98:99], off
	global_load_u16 v155, v[100:101], off
	.loc	1 36 29                         ; indirect_matmul.py:36:29
	s_ashr_i32 s45, s44, 31
	s_lshl_b64 s[24:25], s[42:43], 1
	.loc	1 35 20 is_stmt 1               ; indirect_matmul.py:35:20
	s_clause 0x1
	global_load_u16 v98, v[49:50], off
	global_load_u16 v99, v[51:52], off
	.loc	1 36 29                         ; indirect_matmul.py:36:29
	s_wait_alu depctr_va_vcc(0)
	v_add_co_ci_u32_e64 v48, null, s21, v85, vcc_lo
	v_add_co_u32 v49, vcc_lo, v84, s22
	s_ashr_i32 s47, s46, 31
	s_wait_alu depctr_sa_sdst(0)
	s_lshl_b64 s[26:27], s[44:45], 1
	s_wait_alu depctr_va_vcc(0)
	v_add_co_ci_u32_e64 v50, null, s23, v85, vcc_lo
	v_add_co_u32 v51, vcc_lo, v84, s24
	s_ashr_i32 s49, s48, 31
	s_lshl_b64 s[28:29], s[46:47], 1
	.loc	1 35 20                         ; indirect_matmul.py:35:20
	s_clause 0x1
	global_load_u16 v100, v[53:54], off
	global_load_u16 v101, v[55:56], off
	.loc	1 36 29                         ; indirect_matmul.py:36:29
	s_wait_alu depctr_va_vcc(0)
	v_add_co_ci_u32_e64 v52, null, s25, v85, vcc_lo
	s_wait_alu depctr_sa_sdst(0)
	v_add_co_u32 v53, vcc_lo, v84, s26
	s_ashr_i32 s51, s50, 31
	s_lshl_b64 s[30:31], s[48:49], 1
	.loc	1 35 20                         ; indirect_matmul.py:35:20
	s_clause 0x1
	global_load_u16 v102, v[57:58], off
	global_load_u16 v103, v[59:60], off
	.loc	1 36 29                         ; indirect_matmul.py:36:29
	s_wait_alu depctr_va_vcc(0)
	v_add_co_ci_u32_e64 v54, null, s27, v85, vcc_lo
	v_add_co_u32 v57, vcc_lo, v84, s28
	s_ashr_i32 s53, s52, 31
	s_wait_alu depctr_sa_sdst(0)
	s_lshl_b64 s[34:35], s[50:51], 1
	.loc	1 35 20                         ; indirect_matmul.py:35:20
	s_clause 0x5
	global_load_u16 v106, v[106:107], off
	global_load_u16 v107, v[108:109], off
	;; [unrolled: 1-line block ×6, first 2 shown]
	.loc	1 36 29                         ; indirect_matmul.py:36:29
	s_wait_alu depctr_va_vcc(0)
	v_add_co_ci_u32_e64 v58, null, s29, v85, vcc_lo
	v_add_co_u32 v118, vcc_lo, v84, s30
	s_ashr_i32 s55, s54, 31
	s_lshl_b64 s[36:37], s[52:53], 1
	s_wait_alu depctr_va_vcc(0)
	v_add_co_ci_u32_e64 v119, null, s31, v85, vcc_lo
	s_wait_alu depctr_sa_sdst(0)
	v_add_co_u32 v120, vcc_lo, v84, s34
	s_ashr_i32 s57, s56, 31
	s_lshl_b64 s[38:39], s[54:55], 1
	s_wait_alu depctr_va_vcc(0)
	v_add_co_ci_u32_e64 v121, null, s35, v85, vcc_lo
	.loc	1 36 20 is_stmt 0               ; indirect_matmul.py:36:20
	s_clause 0x1
	global_load_u16 v75, v[132:133], off
	global_load_u16 v77, v[134:135], off
	.loc	1 36 29                         ; indirect_matmul.py:36:29
	v_add_co_u32 v132, vcc_lo, v84, s36
	s_ashr_i32 s59, s58, 31
	s_wait_alu depctr_sa_sdst(0)
	s_lshl_b64 s[62:63], s[56:57], 1
	s_wait_alu depctr_va_vcc(0)
	v_add_co_ci_u32_e64 v133, null, s37, v85, vcc_lo
	v_add_co_u32 v134, vcc_lo, v84, s38
	s_ashr_i32 s61, s60, 31
	s_lshl_b64 s[56:57], s[58:59], 1
	.loc	1 36 20                         ; indirect_matmul.py:36:20
	s_clause 0x1
	global_load_u16 v79, v[136:137], off
	global_load_u16 v80, v[138:139], off
	.loc	1 36 29                         ; indirect_matmul.py:36:29
	s_wait_alu depctr_va_vcc(0)
	v_add_co_ci_u32_e64 v135, null, s39, v85, vcc_lo
	s_wait_alu depctr_sa_sdst(0)
	v_add_co_u32 v136, vcc_lo, v84, s62
	s_ashr_i32 s65, s64, 31
	s_lshl_b64 s[54:55], s[60:61], 1
	s_wait_alu depctr_va_vcc(0)
	v_add_co_ci_u32_e64 v137, null, s63, v85, vcc_lo
	v_add_co_u32 v138, vcc_lo, v84, s56
	s_ashr_i32 s67, s66, 31
	s_wait_alu depctr_sa_sdst(0)
	s_lshl_b64 s[52:53], s[64:65], 1
	.loc	1 36 20                         ; indirect_matmul.py:36:20
	s_clause 0x1
	global_load_u16 v71, v[140:141], off
	global_load_u16 v72, v[142:143], off
	.loc	1 36 29                         ; indirect_matmul.py:36:29
	s_wait_alu depctr_va_vcc(0)
	v_add_co_ci_u32_e64 v139, null, s57, v85, vcc_lo
	v_add_co_u32 v140, vcc_lo, v84, s54
	s_ashr_i32 s71, s70, 31
	s_lshl_b64 s[50:51], s[66:67], 1
	s_wait_alu depctr_va_vcc(0)
	v_add_co_ci_u32_e64 v141, null, s55, v85, vcc_lo
	s_wait_alu depctr_sa_sdst(0)
	v_add_co_u32 v142, vcc_lo, v84, s52
	s_ashr_i32 s73, s72, 31
	s_lshl_b64 s[48:49], s[70:71], 1
	.loc	1 35 20 is_stmt 1               ; indirect_matmul.py:35:20
	s_clause 0x3
	global_load_u16 v110, v[114:115], off
	global_load_u16 v111, v[116:117], off
	;; [unrolled: 1-line block ×4, first 2 shown]
	.loc	1 36 29                         ; indirect_matmul.py:36:29
	s_wait_alu depctr_va_vcc(0)
	v_add_co_ci_u32_e64 v143, null, s53, v85, vcc_lo
	.loc	1 36 20 is_stmt 0               ; indirect_matmul.py:36:20
	s_clause 0x1
	global_load_u16 v122, v[67:68], off
	global_load_u16 v123, v[33:34], off
	.loc	1 36 29                         ; indirect_matmul.py:36:29
	v_add_co_u32 v33, vcc_lo, v84, s50
	s_ashr_i32 s75, s74, 31
	s_wait_alu depctr_sa_sdst(0)
	s_lshl_b64 s[46:47], s[72:73], 1
	.loc	1 35 20 is_stmt 1               ; indirect_matmul.py:35:20
	s_clause 0x1
	global_load_u16 v116, v[126:127], off
	global_load_u16 v117, v[128:129], off
	.loc	1 36 29                         ; indirect_matmul.py:36:29
	s_wait_alu depctr_va_vcc(0)
	v_add_co_ci_u32_e64 v34, null, s51, v85, vcc_lo
	.loc	1 36 20 is_stmt 0               ; indirect_matmul.py:36:20
	s_clause 0x1
	global_load_u16 v125, v[35:36], off
	global_load_u16 v127, v[37:38], off
	.loc	1 36 29                         ; indirect_matmul.py:36:29
	v_add_co_u32 v35, vcc_lo, v84, s48
	s_ashr_i32 s77, s76, 31
	s_lshl_b64 s[44:45], s[74:75], 1
	s_wait_alu depctr_va_vcc(0)
	v_add_co_ci_u32_e64 v36, null, s49, v85, vcc_lo
	s_wait_alu depctr_sa_sdst(0)
	v_add_co_u32 v37, vcc_lo, v84, s46
	s_ashr_i32 s83, s82, 31
	s_lshl_b64 s[42:43], s[76:77], 1
	.loc	1 35 20 is_stmt 1               ; indirect_matmul.py:35:20
	s_clause 0x1
	global_load_u16 v104, v[61:62], off
	global_load_u16 v105, v[63:64], off
	.loc	1 36 20                         ; indirect_matmul.py:36:20
	s_clause 0x1
	global_load_u16 v59, v[39:40], off
	global_load_u16 v61, v[41:42], off
	.loc	1 36 29 is_stmt 0               ; indirect_matmul.py:36:29
	s_wait_alu depctr_va_vcc(0)
	v_add_co_ci_u32_e64 v38, null, s47, v85, vcc_lo
	v_add_co_u32 v39, vcc_lo, v84, s44
	s_ashr_i32 s85, s84, 31
	s_lshl_b64 s[40:41], s[82:83], 1
	s_wait_alu depctr_va_vcc(0)
	v_add_co_ci_u32_e64 v40, null, s45, v85, vcc_lo
	.loc	1 36 20                         ; indirect_matmul.py:36:20
	s_clause 0x1
	global_load_u16 v55, v[47:48], off
	global_load_u16 v56, v[49:50], off
	.loc	1 36 29                         ; indirect_matmul.py:36:29
	s_wait_alu depctr_sa_sdst(0)
	v_add_co_u32 v49, vcc_lo, v84, s42
	s_ashr_i32 s87, s86, 31
	s_lshl_b64 s[76:77], s[84:85], 1
	s_wait_alu depctr_va_vcc(0)
	v_add_co_ci_u32_e64 v50, null, s43, v85, vcc_lo
	.loc	1 36 20                         ; indirect_matmul.py:36:20
	s_clause 0x1
	global_load_u16 v60, v[51:52], off
	global_load_u16 v62, v[53:54], off
	.loc	1 36 29                         ; indirect_matmul.py:36:29
	v_add_co_u32 v51, vcc_lo, v84, s40
	s_ashr_i32 s89, s88, 31
	s_lshl_b64 s[74:75], s[86:87], 1
	s_wait_alu depctr_va_vcc(0)
	v_add_co_ci_u32_e64 v52, null, s41, v85, vcc_lo
	s_wait_alu depctr_sa_sdst(0)
	v_add_co_u32 v53, vcc_lo, v84, s76
	s_ashr_i32 s91, s90, 31
	s_lshl_b64 s[72:73], s[88:89], 1
	.loc	1 36 20                         ; indirect_matmul.py:36:20
	s_clause 0x3
	global_load_u16 v124, v[148:149], off
	global_load_u16 v126, v[69:70], off
	;; [unrolled: 1-line block ×4, first 2 shown]
	.loc	1 36 29                         ; indirect_matmul.py:36:29
	s_wait_alu depctr_va_vcc(0)
	v_add_co_ci_u32_e64 v54, null, s77, v85, vcc_lo
	v_add_co_u32 v57, vcc_lo, v84, s74
	s_ashr_i32 s93, s92, 31
	s_lshl_b64 s[70:71], s[90:91], 1
	s_wait_alu depctr_va_vcc(0)
	v_add_co_ci_u32_e64 v58, null, s75, v85, vcc_lo
	s_wait_alu depctr_sa_sdst(0)
	v_add_co_u32 v118, vcc_lo, v84, s72
	s_ashr_i32 s3, s2, 31
	s_lshl_b64 s[66:67], s[92:93], 1
	.loc	1 36 20                         ; indirect_matmul.py:36:20
	s_clause 0x3
	global_load_u16 v128, v[65:66], off
	global_load_u16 v129, v[73:74], off
	;; [unrolled: 1-line block ×4, first 2 shown]
	.loc	1 36 29                         ; indirect_matmul.py:36:29
	s_wait_alu depctr_va_vcc(0)
	v_add_co_ci_u32_e64 v119, null, s73, v85, vcc_lo
	v_add_co_u32 v120, vcc_lo, v84, s70
	s_ashr_i32 s13, s12, 31
	s_wait_alu depctr_sa_sdst(0)
	s_lshl_b64 s[64:65], s[2:3], 1
	.loc	1 36 20                         ; indirect_matmul.py:36:20
	s_clause 0x1
	global_load_u16 v63, v[43:44], off
	global_load_u16 v64, v[45:46], off
	.loc	1 36 29                         ; indirect_matmul.py:36:29
	s_wait_alu depctr_va_vcc(0)
	v_add_co_ci_u32_e64 v121, null, s71, v85, vcc_lo
	.loc	1 36 20                         ; indirect_matmul.py:36:20
	s_clause 0x1
	global_load_u16 v43, v[142:143], off
	global_load_u16 v45, v[33:34], off
	.loc	1 36 29                         ; indirect_matmul.py:36:29
	v_add_co_u32 v33, vcc_lo, v84, s66
	s_ashr_i32 s1, s0, 31
	s_lshl_b64 s[60:61], s[12:13], 1
	s_wait_alu depctr_va_vcc(0)
	v_add_co_ci_u32_e64 v34, null, s67, v85, vcc_lo
	.loc	1 36 20                         ; indirect_matmul.py:36:20
	s_clause 0x1
	global_load_u16 v47, v[35:36], off
	global_load_u16 v48, v[37:38], off
	.loc	1 36 29                         ; indirect_matmul.py:36:29
	s_wait_alu depctr_sa_sdst(0)
	v_add_co_u32 v35, vcc_lo, v84, s64
	s_ashr_i32 s5, s4, 31
	s_lshl_b64 s[58:59], s[0:1], 1
	s_wait_alu depctr_va_vcc(0)
	v_add_co_ci_u32_e64 v36, null, s65, v85, vcc_lo
	v_add_co_u32 v37, vcc_lo, v84, s60
	.loc	1 35 29 is_stmt 1               ; indirect_matmul.py:35:29
	s_ashr_i32 s69, s68, 31
	.loc	1 36 29                         ; indirect_matmul.py:36:29
	s_wait_alu depctr_sa_sdst(0)
	s_lshl_b64 s[12:13], s[4:5], 1
	.loc	1 36 20 is_stmt 0               ; indirect_matmul.py:36:20
	s_clause 0x1
	global_load_u16 v41, v[39:40], off
	global_load_u16 v42, v[49:50], off
	.loc	1 36 29                         ; indirect_matmul.py:36:29
	s_wait_alu depctr_va_vcc(0)
	v_add_co_ci_u32_e64 v38, null, s61, v85, vcc_lo
	v_add_co_u32 v39, vcc_lo, v84, s58
	.loc	1 35 29 is_stmt 1               ; indirect_matmul.py:35:29
	s_ashr_i32 s79, s78, 31
	s_lshl_b64 s[4:5], s[68:69], 1
	.loc	1 36 20                         ; indirect_matmul.py:36:20
	s_clause 0x1
	global_load_u16 v44, v[51:52], off
	global_load_u16 v46, v[53:54], off
	.loc	1 36 29 is_stmt 0               ; indirect_matmul.py:36:29
	s_wait_alu depctr_va_vcc(0)
	v_add_co_ci_u32_e64 v40, null, s59, v85, vcc_lo
	.loc	1 36 20                         ; indirect_matmul.py:36:20
	s_clause 0x1
	global_load_u16 v51, v[57:58], off
	global_load_u16 v53, v[118:119], off
	.loc	1 36 29                         ; indirect_matmul.py:36:29
	s_wait_alu depctr_sa_sdst(0)
	v_add_co_u32 v118, vcc_lo, v84, s12
	.loc	1 35 29 is_stmt 1               ; indirect_matmul.py:35:29
	s_ashr_i32 s15, s14, 31
	s_lshl_b64 s[2:3], s[78:79], 1
	.loc	1 36 29                         ; indirect_matmul.py:36:29
	s_wait_alu depctr_va_vcc(0)
	v_add_co_ci_u32_e64 v119, null, s13, v85, vcc_lo
	.loc	1 36 20 is_stmt 0               ; indirect_matmul.py:36:20
	s_clause 0x1
	global_load_u16 v57, v[120:121], off
	global_load_u16 v58, v[33:34], off
	.loc	1 35 29 is_stmt 1               ; indirect_matmul.py:35:29
	v_add_co_u32 v33, vcc_lo, v82, s4
	s_wait_alu depctr_sa_sdst(0)
	s_lshl_b64 s[0:1], s[14:15], 1
	s_wait_alu depctr_va_vcc(0)
	v_add_co_ci_u32_e64 v34, null, s5, v83, vcc_lo
	.loc	1 36 20                         ; indirect_matmul.py:36:20
	s_clause 0x1
	global_load_u16 v49, v[35:36], off
	global_load_u16 v50, v[37:38], off
	.loc	1 35 29                         ; indirect_matmul.py:35:29
	v_add_co_u32 v35, vcc_lo, v82, s2
	s_wait_alu depctr_va_vcc(0)
	v_add_co_ci_u32_e64 v36, null, s3, v83, vcc_lo
	s_wait_alu depctr_sa_sdst(0)
	v_add_co_u32 v37, vcc_lo, v82, s0
	s_wait_alu depctr_va_vcc(0)
	v_add_co_ci_u32_e64 v38, null, s1, v83, vcc_lo
	.loc	1 36 20                         ; indirect_matmul.py:36:20
	s_clause 0x7
	global_load_u16 v76, v[144:145], off
	global_load_u16 v78, v[146:147], off
	;; [unrolled: 1-line block ×8, first 2 shown]
	.loc	1 35 20                         ; indirect_matmul.py:35:20
	s_clause 0x3
	global_load_u16 v118, v[130:131], off
	global_load_u16 v119, v[33:34], off
	;; [unrolled: 1-line block ×4, first 2 shown]
	.loc	1 38 21                         ; indirect_matmul.py:38:21
	s_wait_loadcnt 0x3e
	v_perm_b32 v34, v159, v158, 0x5040100
	v_readlane_b32 s0, v166, 13
	v_readlane_b32 s16, v166, 14
	;; [unrolled: 1-line block ×3, first 2 shown]
	.loc	1 32 25                         ; indirect_matmul.py:32:25
	s_addk_co_i32 s0, 0x80
	s_wait_alu depctr_sa_sdst(0)
	s_cmp_lt_i32 s0, s33
	s_add_nc_u64 s[16:17], s[16:17], 0x200
	.loc	1 38 21                         ; indirect_matmul.py:38:21
	v_perm_b32 v38, v162, v161, 0x5040100
	v_perm_b32 v37, v164, v163, 0x5040100
	;; [unrolled: 1-line block ×7, first 2 shown]
	s_wait_loadcnt 0x3a
	v_perm_b32 v138, v77, v75, 0x5040100
	s_wait_loadcnt 0x38
	v_perm_b32 v139, v80, v79, 0x5040100
	;; [unrolled: 2-line block ×11, first 2 shown]
	v_perm_b32 v73, v69, v67, 0x5040100
	s_wait_loadcnt 0x1a
	v_perm_b32 v72, v64, v63, 0x5040100
	s_wait_loadcnt 0x18
	;; [unrolled: 2-line block ×13, first 2 shown]
	s_barrier_signal -1
	s_barrier_wait -1
	global_inv scope:SCOPE_SE
	ds_store_b128 v87, v[33:36]
	ds_store_b128 v87, v[37:40] offset:256
	s_wait_loadcnt_dscnt 0x0
	s_barrier_signal -1
	s_barrier_wait -1
	global_inv scope:SCOPE_SE
	ds_load_b128 v[33:36], v88
	ds_load_b128 v[37:40], v88 offset:128
	ds_load_b128 v[130:133], v88 offset:4096
	;; [unrolled: 1-line block ×3, first 2 shown]
	.loc	1 38 26 is_stmt 0               ; indirect_matmul.py:38:26
	s_wait_dscnt 0x2
	v_perm_b32 v153, v38, v34, 0x7060302
	v_perm_b32 v151, v37, v33, 0x7060302
	;; [unrolled: 1-line block ×8, first 2 shown]
	s_wait_dscnt 0x0
	v_perm_b32 v161, v135, v131, 0x7060302
	v_perm_b32 v159, v134, v130, 0x7060302
	;; [unrolled: 1-line block ×8, first 2 shown]
	.loc	1 38 21                         ; indirect_matmul.py:38:21
	s_wait_loadcnt 0x0
	s_barrier_signal -1
	s_barrier_wait -1
	global_inv scope:SCOPE_SE
	ds_store_b128 v87, v[138:141]
	ds_store_b128 v87, v[77:80] offset:256
	s_wait_loadcnt_dscnt 0x0
	s_barrier_signal -1
	s_barrier_wait -1
	global_inv scope:SCOPE_SE
	ds_load_b128 v[75:78], v88
	ds_load_b128 v[122:125], v88 offset:128
	ds_load_b128 v[126:129], v88 offset:4096
	;; [unrolled: 1-line block ×3, first 2 shown]
	.loc	1 38 26                         ; indirect_matmul.py:38:26
	s_wait_dscnt 0x2
	v_perm_b32 v40, v123, v76, 0x7060302
	v_perm_b32 v38, v122, v75, 0x7060302
	v_perm_b32 v39, v123, v76, 0x5040100
	v_perm_b32 v37, v122, v75, 0x5040100
	v_perm_b32 v36, v125, v78, 0x7060302
	v_perm_b32 v34, v124, v77, 0x7060302
	v_perm_b32 v35, v125, v78, 0x5040100
	v_perm_b32 v33, v124, v77, 0x5040100
	s_wait_dscnt 0x0
	v_perm_b32 v56, v139, v127, 0x7060302
	v_perm_b32 v54, v138, v126, 0x7060302
	;; [unrolled: 1-line block ×8, first 2 shown]
	.loc	1 38 21                         ; indirect_matmul.py:38:21
	s_wait_loadcnt 0x0
	s_barrier_signal -1
	s_barrier_wait -1
	global_inv scope:SCOPE_SE
	ds_store_b128 v87, v[71:74]
	ds_store_b128 v87, v[61:64] offset:256
	s_wait_loadcnt_dscnt 0x0
	s_barrier_signal -1
	s_barrier_wait -1
	global_inv scope:SCOPE_SE
	ds_load_b128 v[59:62], v88
	ds_load_b128 v[63:66], v88 offset:128
	ds_load_b128 v[67:70], v88 offset:4096
	;; [unrolled: 1-line block ×3, first 2 shown]
	.loc	1 38 26                         ; indirect_matmul.py:38:26
	s_wait_dscnt 0x2
	v_perm_b32 v48, v64, v60, 0x7060302
	v_perm_b32 v46, v63, v59, 0x7060302
	;; [unrolled: 1-line block ×4, first 2 shown]
	s_wait_dscnt 0x0
	v_perm_b32 v60, v74, v70, 0x7060302
	v_perm_b32 v58, v73, v69, 0x7060302
	;; [unrolled: 1-line block ×12, first 2 shown]
	.loc	1 38 21                         ; indirect_matmul.py:38:21
	s_wait_loadcnt 0x0
	s_barrier_signal -1
	s_barrier_wait -1
	global_inv scope:SCOPE_SE
	ds_store_b128 v87, v[142:145]
	ds_store_b128 v87, v[146:149] offset:256
	s_wait_loadcnt_dscnt 0x0
	s_barrier_signal -1
	s_barrier_wait -1
	global_inv scope:SCOPE_SE
	ds_load_b128 v[77:80], v88
	ds_load_b128 v[122:125], v88 offset:128
	ds_load_b128 v[73:76], v88 offset:4096
	.loc	1 38 26                         ; indirect_matmul.py:38:26
	s_wait_dscnt 0x1
	v_perm_b32 v72, v123, v78, 0x7060302
	v_perm_b32 v70, v122, v77, 0x7060302
	;; [unrolled: 1-line block ×8, first 2 shown]
	.loc	1 38 21                         ; indirect_matmul.py:38:21
	ds_load_b128 v[77:80], v88 offset:4224
	.loc	1 38 26                         ; indirect_matmul.py:38:26
	s_wait_dscnt 0x0
	v_perm_b32 v125, v78, v74, 0x7060302
	v_perm_b32 v123, v77, v73, 0x7060302
	;; [unrolled: 1-line block ×4, first 2 shown]
	.loc	1 35 20 is_stmt 1               ; indirect_matmul.py:35:20
	s_wait_loadcnt 0x0
	s_barrier_signal -1
	s_barrier_wait -1
	global_inv scope:SCOPE_SE
	ds_store_b16 v89, v92
	ds_store_b16 v89, v93 offset:512
	ds_store_b16 v89, v94 offset:1024
	ds_store_b16 v89, v95 offset:1536
	ds_store_b16 v89, v90 offset:2048
	ds_store_b16 v89, v91 offset:2560
	ds_store_b16 v89, v96 offset:3072
	ds_store_b16 v89, v97 offset:3584
	ds_store_b16 v89, v98 offset:4096
	ds_store_b16 v89, v99 offset:4608
	ds_store_b16 v89, v100 offset:5120
	ds_store_b16 v89, v101 offset:5632
	ds_store_b16 v89, v102 offset:6144
	ds_store_b16 v89, v103 offset:6656
	ds_store_b16 v89, v104 offset:7168
	ds_store_b16 v89, v105 offset:7680
	ds_store_b16 v89, v106 offset:8192
	ds_store_b16 v89, v107 offset:8704
	ds_store_b16 v89, v108 offset:9216
	ds_store_b16 v89, v109 offset:9728
	ds_store_b16 v89, v110 offset:10240
	ds_store_b16 v89, v111 offset:10752
	ds_store_b16 v89, v112 offset:11264
	ds_store_b16 v89, v113 offset:11776
	ds_store_b16 v89, v114 offset:12288
	ds_store_b16 v89, v115 offset:12800
	ds_store_b16 v89, v116 offset:13312
	ds_store_b16 v89, v117 offset:13824
	ds_store_b16 v89, v118 offset:14336
	ds_store_b16 v89, v119 offset:14848
	ds_store_b16 v89, v120 offset:15360
	ds_store_b16 v89, v121 offset:15872
	s_wait_loadcnt_dscnt 0x0
	s_barrier_signal -1
	.loc	1 38 26                         ; indirect_matmul.py:38:26
	v_perm_b32 v93, v80, v76, 0x7060302
	v_perm_b32 v91, v79, v75, 0x7060302
	;; [unrolled: 1-line block ×4, first 2 shown]
	.loc	1 35 20                         ; indirect_matmul.py:35:20
	s_barrier_wait -1
	global_inv scope:SCOPE_SE
	ds_load_u16 v97, v86 offset:832
	ds_load_u16 v98, v86 offset:2112
	;; [unrolled: 1-line block ×17, first 2 shown]
	ds_load_u16 v115, v86
	ds_load_u16 v117, v86 offset:512
	ds_load_u16 v118, v86 offset:768
	;; [unrolled: 1-line block ×3, first 2 shown]
	s_wait_dscnt 0x13
	ds_load_u16_d16_hi v98, v86 offset:2240
	ds_load_u16 v94, v86 offset:64
	ds_load_u16 v96, v86 offset:576
	;; [unrolled: 1-line block ×3, first 2 shown]
	s_wait_dscnt 0x8
	ds_load_u16_d16_hi v116, v86 offset:384
	s_wait_dscnt 0x8
	ds_load_u16_d16_hi v115, v86 offset:128
	;; [unrolled: 2-line block ×4, first 2 shown]
	ds_load_u16_d16_hi v97, v86 offset:960
	s_wait_dscnt 0x9
	ds_load_u16_d16_hi v102, v86 offset:2176
	s_wait_dscnt 0x8
	;; [unrolled: 2-line block ×4, first 2 shown]
	ds_load_u16_d16_hi v95, v86 offset:448
	ds_load_u16 v120, v86 offset:4672
	ds_load_u16 v121, v86 offset:4928
	;; [unrolled: 1-line block ×5, first 2 shown]
	.loc	1 38 26                         ; indirect_matmul.py:38:26
	s_wait_dscnt 0xa
	v_wmma_f32_16x16x16_bf16 v[1:8], v[115:118], v[150:153], v[1:8]
	v_wmma_f32_16x16x16_bf16 v[17:24], v[115:118], v[158:161], v[17:24]
	s_wait_dscnt 0x5
	v_wmma_f32_16x16x16_bf16 v[25:32], v[94:97], v[150:153], v[25:32]
	v_wmma_f32_16x16x16_bf16 v[9:16], v[94:97], v[158:161], v[9:16]
	.loc	1 35 20                         ; indirect_matmul.py:35:20
	ds_load_u16 v96, v86 offset:8704
	ds_load_u16 v97, v86 offset:8960
	;; [unrolled: 1-line block ×3, first 2 shown]
	ds_load_u16_d16_hi v103, v86 offset:2432
	ds_load_u16_d16_hi v104, v86 offset:2688
	;; [unrolled: 1-line block ×3, first 2 shown]
	ds_load_u16 v118, v86 offset:4160
	ds_load_u16 v119, v86 offset:4416
	.loc	1 38 26                         ; indirect_matmul.py:38:26
	s_wait_dscnt 0x2
	v_wmma_f32_16x16x16_bf16 v[1:8], v[102:105], v[154:157], v[1:8]
	v_wmma_f32_16x16x16_bf16 v[17:24], v[102:105], v[162:165], v[17:24]
	.loc	1 35 20                         ; indirect_matmul.py:35:20
	ds_load_u16 v102, v86 offset:10304
	ds_load_u16 v103, v86 offset:10560
	;; [unrolled: 1-line block ×3, first 2 shown]
	ds_load_u16_d16_hi v99, v86 offset:2496
	ds_load_u16_d16_hi v100, v86 offset:2752
	;; [unrolled: 1-line block ×5, first 2 shown]
	s_wait_dscnt 0x8
	ds_load_u16_d16_hi v119, v86 offset:4544
	ds_load_u16_d16_hi v118, v86 offset:4288
	ds_load_u16 v134, v86 offset:12288
	ds_load_u16 v105, v86 offset:11072
	;; [unrolled: 1-line block ×10, first 2 shown]
	.loc	1 38 26                         ; indirect_matmul.py:38:26
	s_wait_dscnt 0xe
	v_wmma_f32_16x16x16_bf16 v[25:32], v[98:101], v[154:157], v[25:32]
	v_wmma_f32_16x16x16_bf16 v[9:16], v[98:101], v[162:165], v[9:16]
	.loc	1 35 20                         ; indirect_matmul.py:35:20
	ds_load_u16 v99, v86 offset:14592
	ds_load_u16 v100, v86 offset:14848
	;; [unrolled: 1-line block ×5, first 2 shown]
	ds_load_u16_d16_hi v107, v86 offset:4480
	ds_load_u16_d16_hi v108, v86 offset:4736
	;; [unrolled: 1-line block ×3, first 2 shown]
	s_wait_dscnt 0x3
	ds_load_u16_d16_hi v138, v86 offset:14528
	.loc	1 38 26                         ; indirect_matmul.py:38:26
	s_wait_dscnt 0x1
	v_wmma_f32_16x16x16_bf16 v[1:8], v[106:109], v[37:40], v[1:8]
	v_wmma_f32_16x16x16_bf16 v[17:24], v[106:109], v[53:56], v[17:24]
	.loc	1 35 20                         ; indirect_matmul.py:35:20
	ds_load_u16 v106, v86 offset:12352
	ds_load_u16 v140, v86 offset:14912
	;; [unrolled: 1-line block ×10, first 2 shown]
	ds_load_u16_d16_hi v127, v86 offset:8640
	ds_load_u16 v117, v86 offset:6976
	ds_load_u16_d16_hi v139, v86 offset:14784
	ds_load_u16 v109, v86 offset:13120
	ds_load_u16_d16_hi v96, v86 offset:8832
	ds_load_u16_d16_hi v97, v86 offset:9088
	;; [unrolled: 1-line block ×7, first 2 shown]
	s_wait_dscnt 0x12
	ds_load_u16_d16_hi v141, v86 offset:15296
	ds_load_u16_d16_hi v140, v86 offset:15040
	;; [unrolled: 1-line block ×8, first 2 shown]
	s_wait_dscnt 0x11
	ds_load_u16_d16_hi v117, v86 offset:7104
	ds_load_u16_d16_hi v94, v86 offset:8320
	;; [unrolled: 1-line block ×14, first 2 shown]
	s_wait_dscnt 0x1d
	ds_load_u16_d16_hi v109, v86 offset:13248
	ds_load_u16_d16_hi v134, v86 offset:12416
	;; [unrolled: 1-line block ×9, first 2 shown]
	.loc	1 38 26                         ; indirect_matmul.py:38:26
	s_wait_dscnt 0x13
	v_wmma_f32_16x16x16_bf16 v[25:32], v[118:121], v[37:40], v[25:32]
	v_wmma_f32_16x16x16_bf16 v[9:16], v[118:121], v[53:56], v[9:16]
	s_wait_dscnt 0xf
	v_wmma_f32_16x16x16_bf16 v[1:8], v[110:113], v[33:36], v[1:8]
	v_wmma_f32_16x16x16_bf16 v[17:24], v[110:113], v[49:52], v[17:24]
	s_wait_dscnt 0xd
	v_wmma_f32_16x16x16_bf16 v[25:32], v[114:117], v[33:36], v[25:32]
	v_wmma_f32_16x16x16_bf16 v[9:16], v[114:117], v[49:52], v[9:16]
	s_wait_dscnt 0xb
	v_wmma_f32_16x16x16_bf16 v[1:8], v[94:97], v[45:48], v[1:8]
	v_wmma_f32_16x16x16_bf16 v[17:24], v[94:97], v[61:64], v[17:24]
	s_wait_dscnt 0x9
	v_wmma_f32_16x16x16_bf16 v[25:32], v[126:129], v[45:48], v[25:32]
	v_wmma_f32_16x16x16_bf16 v[9:16], v[126:129], v[61:64], v[9:16]
	v_wmma_f32_16x16x16_bf16 v[1:8], v[130:133], v[41:44], v[1:8]
	v_wmma_f32_16x16x16_bf16 v[17:24], v[130:133], v[57:60], v[17:24]
	s_wait_dscnt 0x6
	v_wmma_f32_16x16x16_bf16 v[25:32], v[102:105], v[41:44], v[25:32]
	v_wmma_f32_16x16x16_bf16 v[9:16], v[102:105], v[57:60], v[9:16]
	s_wait_dscnt 0x2
	;; [unrolled: 3-line block ×3, first 2 shown]
	v_wmma_f32_16x16x16_bf16 v[25:32], v[106:109], v[69:72], v[25:32]
	v_wmma_f32_16x16x16_bf16 v[9:16], v[106:109], v[122:125], v[9:16]
	;; [unrolled: 1-line block ×4, first 2 shown]
	s_delay_alu instid0(VALU_DEP_4) | instskip(NEXT) | instid1(VALU_DEP_4)
	v_wmma_f32_16x16x16_bf16 v[25:32], v[138:141], v[65:68], v[25:32]
	v_wmma_f32_16x16x16_bf16 v[9:16], v[138:141], v[90:93], v[9:16]
	.loc	1 32 25                         ; indirect_matmul.py:32:25
	s_cbranch_scc1 .LBB0_2
; %bb.3:                                ; %Flow
	.loc	1 0 25 is_stmt 0                ; indirect_matmul.py:0:25
	v_readlane_b32 s0, v166, 0
	v_readlane_b32 s1, v166, 1
	;; [unrolled: 1-line block ×3, first 2 shown]
	s_load_b64 s[2:3], s[0:1], 0x0
	s_branch .LBB0_5
.LBB0_4:
	v_mov_b32_e32 v16, 0
	s_delay_alu instid0(VALU_DEP_1)
	v_dual_mov_b32 v15, v16 :: v_dual_mov_b32 v14, v16
	v_dual_mov_b32 v13, v16 :: v_dual_mov_b32 v12, v16
	;; [unrolled: 1-line block ×15, first 2 shown]
	v_mov_b32_e32 v1, v16
.LBB0_5:                                ; %Flow327
	s_load_b32 s0, s[0:1], 0x8
	.loc	1 26 35 is_stmt 1               ; indirect_matmul.py:26:35
	v_lshrrev_b32_e32 v33, 1, v81
	.loc	1 42 28                         ; indirect_matmul.py:42:28
	s_lshr_b32 s1, s4, 2
	s_wait_alu depctr_sa_sdst(0)
	v_and_or_b32 v0, v0, 15, s1
	s_delay_alu instid0(VALU_DEP_2) | instskip(NEXT) | instid1(VALU_DEP_2)
	.loc	1 26 35                         ; indirect_matmul.py:26:35
	v_and_b32_e32 v33, 24, v33
	.loc	1 42 21                         ; indirect_matmul.py:42:21
	v_lshlrev_b32_e32 v0, 2, v0
	s_delay_alu instid0(VALU_DEP_2)
	.loc	1 26 35                         ; indirect_matmul.py:26:35
	v_or_b32_e32 v35, 1, v33
	v_or_b32_e32 v37, 2, v33
	;; [unrolled: 1-line block ×15, first 2 shown]
	.loc	1 42 48                         ; indirect_matmul.py:42:48
	s_wait_kmcnt 0x0
	v_mul_lo_u32 v33, v33, s0
	v_mul_lo_u32 v35, v35, s0
	;; [unrolled: 1-line block ×8, first 2 shown]
	.loc	1 42 39 is_stmt 0               ; indirect_matmul.py:42:39
	v_ashrrev_i32_e32 v34, 31, v33
	v_ashrrev_i32_e32 v36, 31, v35
	.loc	1 42 48                         ; indirect_matmul.py:42:48
	v_mul_lo_u32 v45, v45, s0
	v_mul_lo_u32 v63, v38, s0
	.loc	1 42 39                         ; indirect_matmul.py:42:39
	v_ashrrev_i32_e32 v38, 31, v37
	v_lshlrev_b64_e32 v[33:34], 2, v[33:34]
	.loc	1 42 21                         ; indirect_matmul.py:42:21
	v_add_co_u32 v0, s1, s2, v0
	.loc	1 42 48                         ; indirect_matmul.py:42:48
	v_mul_lo_u32 v47, v47, s0
	v_mul_lo_u32 v61, v40, s0
	.loc	1 42 39                         ; indirect_matmul.py:42:39
	v_ashrrev_i32_e32 v40, 31, v39
	v_lshlrev_b64_e32 v[35:36], 2, v[35:36]
	.loc	1 42 21                         ; indirect_matmul.py:42:21
	s_wait_alu depctr_va_sdst(0)
	v_add_co_ci_u32_e64 v65, null, s3, 0, s1
	.loc	1 42 48                         ; indirect_matmul.py:42:48
	v_mul_lo_u32 v49, v48, s0
	v_mul_lo_u32 v59, v42, s0
	.loc	1 42 39                         ; indirect_matmul.py:42:39
	v_ashrrev_i32_e32 v42, 31, v41
	v_lshlrev_b64_e32 v[37:38], 2, v[37:38]
	.loc	1 42 48                         ; indirect_matmul.py:42:48
	v_mul_lo_u32 v51, v46, s0
	v_mul_lo_u32 v55, v44, s0
	.loc	1 42 39                         ; indirect_matmul.py:42:39
	v_ashrrev_i32_e32 v44, 31, v43
	v_add_co_u32 v33, vcc_lo, v0, v33
	v_lshlrev_b64_e32 v[39:40], 2, v[39:40]
	v_ashrrev_i32_e32 v46, 31, v45
	s_wait_alu depctr_va_vcc(0)
	v_add_co_ci_u32_e64 v34, null, v65, v34, vcc_lo
	v_add_co_u32 v35, vcc_lo, v0, v35
	v_lshlrev_b64_e32 v[41:42], 2, v[41:42]
	v_ashrrev_i32_e32 v48, 31, v47
	s_wait_alu depctr_va_vcc(0)
	v_add_co_ci_u32_e64 v36, null, v65, v36, vcc_lo
	;; [unrolled: 5-line block ×10, first 2 shown]
	v_add_co_u32 v53, vcc_lo, v0, v53
	v_lshlrev_b64_e32 v[59:60], 2, v[59:60]
	s_wait_alu depctr_va_vcc(0)
	v_add_co_ci_u32_e64 v54, null, v65, v54, vcc_lo
	v_add_co_u32 v55, vcc_lo, v0, v55
	v_lshlrev_b64_e32 v[61:62], 2, v[61:62]
	s_wait_alu depctr_va_vcc(0)
	v_add_co_ci_u32_e64 v56, null, v65, v56, vcc_lo
	;; [unrolled: 4-line block ×3, first 2 shown]
	v_add_co_u32 v59, vcc_lo, v0, v59
	s_wait_alu depctr_va_vcc(0)
	v_add_co_ci_u32_e64 v60, null, v65, v60, vcc_lo
	v_add_co_u32 v61, vcc_lo, v0, v61
	s_wait_alu depctr_va_vcc(0)
	v_add_co_ci_u32_e64 v62, null, v65, v62, vcc_lo
	;; [unrolled: 3-line block ×3, first 2 shown]
	.loc	1 43 23 is_stmt 1               ; indirect_matmul.py:43:23
	s_clause 0x1f
	global_store_b32 v[33:34], v1, off
	global_store_b32 v[35:36], v2, off
	;; [unrolled: 1-line block ×16, first 2 shown]
	global_store_b32 v[33:34], v17, off offset:256
	global_store_b32 v[35:36], v18, off offset:256
	;; [unrolled: 1-line block ×16, first 2 shown]
	.loc	1 43 4 is_stmt 0                ; indirect_matmul.py:43:4
	s_nop 0
	s_sendmsg sendmsg(MSG_DEALLOC_VGPRS)
	s_endpgm
.Ltmp1:
	.section	.rodata,"a",@progbits
	.p2align	6, 0x0
	.amdhsa_kernel indirect_matmul_kernel
		.amdhsa_group_segment_fixed_size 0
		.amdhsa_private_segment_fixed_size 0
		.amdhsa_kernarg_size 80
		.amdhsa_user_sgpr_count 2
		.amdhsa_user_sgpr_dispatch_ptr 0
		.amdhsa_user_sgpr_queue_ptr 0
		.amdhsa_user_sgpr_kernarg_segment_ptr 1
		.amdhsa_user_sgpr_dispatch_id 0
		.amdhsa_user_sgpr_private_segment_size 0
		.amdhsa_wavefront_size32 1
		.amdhsa_uses_dynamic_stack 0
		.amdhsa_enable_private_segment 0
		.amdhsa_system_sgpr_workgroup_id_x 1
		.amdhsa_system_sgpr_workgroup_id_y 1
		.amdhsa_system_sgpr_workgroup_id_z 1
		.amdhsa_system_sgpr_workgroup_info 0
		.amdhsa_system_vgpr_workitem_id 0
		.amdhsa_next_free_vgpr 167
		.amdhsa_next_free_sgpr 105
		.amdhsa_reserve_vcc 1
		.amdhsa_float_round_mode_32 0
		.amdhsa_float_round_mode_16_64 0
		.amdhsa_float_denorm_mode_32 3
		.amdhsa_float_denorm_mode_16_64 3
		.amdhsa_fp16_overflow 0
		.amdhsa_workgroup_processor_mode 1
		.amdhsa_memory_ordered 1
		.amdhsa_forward_progress 1
		.amdhsa_inst_pref_size 86
		.amdhsa_round_robin_scheduling 0
		.amdhsa_exception_fp_ieee_invalid_op 0
		.amdhsa_exception_fp_denorm_src 0
		.amdhsa_exception_fp_ieee_div_zero 0
		.amdhsa_exception_fp_ieee_overflow 0
		.amdhsa_exception_fp_ieee_underflow 0
		.amdhsa_exception_fp_ieee_inexact 0
		.amdhsa_exception_int_div_zero 0
	.end_amdhsa_kernel
	.text
.Lfunc_end0:
	.size	indirect_matmul_kernel, .Lfunc_end0-indirect_matmul_kernel
	.cfi_endproc
                                        ; -- End function
	.set indirect_matmul_kernel.num_vgpr, 167
	.set indirect_matmul_kernel.num_agpr, 0
	.set indirect_matmul_kernel.numbered_sgpr, 105
	.set indirect_matmul_kernel.num_named_barrier, 0
	.set indirect_matmul_kernel.private_seg_size, 0
	.set indirect_matmul_kernel.uses_vcc, 1
	.set indirect_matmul_kernel.uses_flat_scratch, 0
	.set indirect_matmul_kernel.has_dyn_sized_stack, 0
	.set indirect_matmul_kernel.has_recursion, 0
	.set indirect_matmul_kernel.has_indirect_call, 0
	.section	.AMDGPU.csdata,"",@progbits
; Kernel info:
; codeLenInByte = 11008
; TotalNumSgprs: 107
; NumVgprs: 167
; ScratchSize: 0
; MemoryBound: 0
; FloatMode: 240
; IeeeMode: 1
; LDSByteSize: 0 bytes/workgroup (compile time only)
; SGPRBlocks: 0
; VGPRBlocks: 20
; NumSGPRsForWavesPerEU: 107
; NumVGPRsForWavesPerEU: 167
; Occupancy: 9
; WaveLimiterHint : 1
; COMPUTE_PGM_RSRC2:SCRATCH_EN: 0
; COMPUTE_PGM_RSRC2:USER_SGPR: 2
; COMPUTE_PGM_RSRC2:TRAP_HANDLER: 0
; COMPUTE_PGM_RSRC2:TGID_X_EN: 1
; COMPUTE_PGM_RSRC2:TGID_Y_EN: 1
; COMPUTE_PGM_RSRC2:TGID_Z_EN: 1
; COMPUTE_PGM_RSRC2:TIDIG_COMP_CNT: 0
	.text
	.p2alignl 7, 3214868480
	.fill 96, 4, 3214868480
	.section	.AMDGPU.gpr_maximums,"",@progbits
	.set amdgpu.max_num_vgpr, 0
	.set amdgpu.max_num_agpr, 0
	.set amdgpu.max_num_sgpr, 0
	.set amdgpu.max_num_named_barrier, 0
	.text
	.section	.debug_abbrev,"",@progbits
	.byte	1                               ; Abbreviation Code
	.byte	17                              ; DW_TAG_compile_unit
	.byte	0                               ; DW_CHILDREN_no
	.byte	37                              ; DW_AT_producer
	.byte	14                              ; DW_FORM_strp
	.byte	19                              ; DW_AT_language
	.byte	5                               ; DW_FORM_data2
	.byte	3                               ; DW_AT_name
	.byte	14                              ; DW_FORM_strp
	.byte	16                              ; DW_AT_stmt_list
	.byte	23                              ; DW_FORM_sec_offset
	.byte	27                              ; DW_AT_comp_dir
	.byte	14                              ; DW_FORM_strp
	.byte	17                              ; DW_AT_low_pc
	.byte	1                               ; DW_FORM_addr
	.byte	18                              ; DW_AT_high_pc
	.byte	6                               ; DW_FORM_data4
	.byte	0                               ; EOM(1)
	.byte	0                               ; EOM(2)
	;; [unrolled: 1-line block ×3, first 2 shown]
	.section	.debug_info,"",@progbits
.Lcu_begin0:
	.long	.Ldebug_info_end0-.Ldebug_info_start0 ; Length of Unit
.Ldebug_info_start0:
	.short	4                               ; DWARF version number
	.long	.debug_abbrev                   ; Offset Into Abbrev. Section
	.byte	8                               ; Address Size (in bytes)
	.byte	1                               ; Abbrev [1] 0xb:0x1f DW_TAG_compile_unit
	.long	.Linfo_string0                  ; DW_AT_producer
	.short	2                               ; DW_AT_language
	.long	.Linfo_string1                  ; DW_AT_name
	.long	.Lline_table_start0             ; DW_AT_stmt_list
	.long	.Linfo_string2                  ; DW_AT_comp_dir
	.quad	.Lfunc_begin0                   ; DW_AT_low_pc
	.long	.Lfunc_end0-.Lfunc_begin0       ; DW_AT_high_pc
.Ldebug_info_end0:
	.section	.debug_str,"MS",@progbits,1
.Linfo_string0:
	.asciz	"triton"                        ; string offset=0
.Linfo_string1:
	.asciz	"indirect_matmul.py"            ; string offset=7
.Linfo_string2:
	.asciz	"/root/src/amdgpu-assembly/repos/triton-lang__triton-aot" ; string offset=26
	.section	".note.GNU-stack","",@progbits
	.amdgpu_metadata
---
amdhsa.kernels:
  - .args:
      - .address_space:  global
        .offset:         0
        .size:           8
        .value_kind:     global_buffer
      - .offset:         8
        .size:           4
        .value_kind:     by_value
      - .address_space:  global
        .offset:         16
        .size:           8
        .value_kind:     global_buffer
      - .offset:         24
        .size:           4
        .value_kind:     by_value
      - .address_space:  global
        .offset:         32
        .size:           8
        .value_kind:     global_buffer
      - .offset:         40
        .size:           4
        .value_kind:     by_value
      - .address_space:  global
        .offset:         48
        .size:           8
        .value_kind:     global_buffer
      - .offset:         56
        .size:           4
        .value_kind:     by_value
      - .address_space:  global
        .offset:         64
        .size:           8
        .value_kind:     global_buffer
      - .address_space:  global
        .offset:         72
        .size:           8
        .value_kind:     global_buffer
    .group_segment_fixed_size: 0
    .kernarg_segment_align: 8
    .kernarg_segment_size: 80
    .max_flat_workgroup_size: 256
    .name:           indirect_matmul_kernel
    .private_segment_fixed_size: 0
    .sgpr_count:     107
    .sgpr_spill_count: 16
    .symbol:         indirect_matmul_kernel.kd
    .uniform_work_group_size: 1
    .uses_dynamic_stack: false
    .vgpr_count:     167
    .vgpr_spill_count: 0
    .wavefront_size: 32
    .workgroup_processor_mode: 1
amdhsa.target:   amdgcn-amd-amdhsa--gfx1201
amdhsa.version:
  - 1
  - 2
...

	.end_amdgpu_metadata
	.section	.debug_line,"",@progbits
.Lline_table_start0:
